;; amdgpu-corpus repo=zjin-lcf/HeCBench kind=compiled arch=gfx1250 opt=O3
	.amdgcn_target "amdgcn-amd-amdhsa--gfx1250"
	.amdhsa_code_object_version 6
	.section	.text._Z16KernelPool2DGradI11AvgPoolGradIfEfLi11ELi11ELi4ELi4ELi1ELi1ELb1EEviPKT0_S4_S4_iiiiiT_PS2_b,"axG",@progbits,_Z16KernelPool2DGradI11AvgPoolGradIfEfLi11ELi11ELi4ELi4ELi1ELi1ELb1EEviPKT0_S4_S4_iiiiiT_PS2_b,comdat
	.protected	_Z16KernelPool2DGradI11AvgPoolGradIfEfLi11ELi11ELi4ELi4ELi1ELi1ELb1EEviPKT0_S4_S4_iiiiiT_PS2_b ; -- Begin function _Z16KernelPool2DGradI11AvgPoolGradIfEfLi11ELi11ELi4ELi4ELi1ELi1ELb1EEviPKT0_S4_S4_iiiiiT_PS2_b
	.globl	_Z16KernelPool2DGradI11AvgPoolGradIfEfLi11ELi11ELi4ELi4ELi1ELi1ELb1EEviPKT0_S4_S4_iiiiiT_PS2_b
	.p2align	8
	.type	_Z16KernelPool2DGradI11AvgPoolGradIfEfLi11ELi11ELi4ELi4ELi1ELi1ELb1EEviPKT0_S4_S4_iiiiiT_PS2_b,@function
_Z16KernelPool2DGradI11AvgPoolGradIfEfLi11ELi11ELi4ELi4ELi1ELi1ELb1EEviPKT0_S4_S4_iiiiiT_PS2_b: ; @_Z16KernelPool2DGradI11AvgPoolGradIfEfLi11ELi11ELi4ELi4ELi1ELi1ELb1EEviPKT0_S4_S4_iiiiiT_PS2_b
; %bb.0:
	s_clause 0x1
	s_load_b32 s2, s[0:1], 0x54
	s_load_b32 s16, s[0:1], 0x0
	s_bfe_u32 s3, ttmp6, 0x4000c
	s_and_b32 s4, ttmp6, 15
	s_add_co_i32 s3, s3, 1
	s_getreg_b32 s5, hwreg(HW_REG_IB_STS2, 6, 4)
	s_mul_i32 s3, ttmp9, s3
	s_delay_alu instid0(SALU_CYCLE_1)
	s_add_co_i32 s4, s4, s3
	s_wait_kmcnt 0x0
	s_and_b32 s2, s2, 0xffff
	s_cmp_eq_u32 s5, 0
	s_cselect_b32 s3, ttmp9, s4
	s_mov_b32 s4, exec_lo
	v_mad_u32 v6, s3, s2, v0
	s_mov_b32 s3, 0
	s_delay_alu instid0(VALU_DEP_1)
	v_cmpx_gt_i32_e64 s16, v6
	s_cbranch_execz .LBB0_20
; %bb.1:
	s_clause 0x2
	s_load_b128 s[4:7], s[0:1], 0x20
	s_load_b96 s[8:10], s[0:1], 0x38
	s_load_b32 s17, s[0:1], 0x30
	s_add_nc_u64 s[14:15], s[0:1], 0x48
	s_load_b32 s23, s[14:15], 0x0
	s_load_b64 s[12:13], s[0:1], 0x18
	v_mov_b32_e32 v1, 0
	s_mov_b32 s11, s3
	s_wait_xcnt 0x0
	s_mov_b32 s15, s3
	s_wait_kmcnt 0x0
	s_bitcmp1_b32 s10, 0
	s_mul_i32 s1, s17, s7
	s_cselect_b32 s18, -1, 0
	s_abs_i32 s19, s6
	s_abs_i32 s20, s5
	;; [unrolled: 1-line block ×3, first 2 shown]
	s_cvt_f32_u32 s0, s19
	s_cvt_f32_u32 s10, s20
	;; [unrolled: 1-line block ×3, first 2 shown]
	s_mul_i32 s23, s23, s2
	v_rcp_iflag_f32_e32 v0, s0
	v_rcp_iflag_f32_e32 v2, s10
	;; [unrolled: 1-line block ×3, first 2 shown]
	s_sub_co_i32 s14, 0, s19
	s_sub_co_i32 s28, 0, s20
	;; [unrolled: 1-line block ×3, first 2 shown]
	s_mul_i32 s22, s1, s4
	v_readfirstlane_b32 s0, v0
	v_readfirstlane_b32 s2, v2
	;; [unrolled: 1-line block ×3, first 2 shown]
	s_ashr_i32 s24, s6, 31
	s_ashr_i32 s25, s5, 31
	s_mul_f32 s0, s0, 0x4f7ffffe
	s_mul_f32 s2, s2, 0x4f7ffffe
	s_mul_f32 s10, s10, 0x4f7ffffe
	s_ashr_i32 s26, s4, 31
	s_cvt_u32_f32 s0, s0
	s_cvt_u32_f32 s30, s2
	;; [unrolled: 1-line block ×3, first 2 shown]
	s_xor_b32 s27, s18, -1
	s_mul_i32 s14, s14, s0
	s_mul_i32 s28, s28, s30
	;; [unrolled: 1-line block ×3, first 2 shown]
	s_mul_hi_u32 s2, s0, s14
	s_mul_hi_u32 s10, s30, s28
	;; [unrolled: 1-line block ×3, first 2 shown]
	s_add_co_i32 s2, s0, s2
	s_add_co_i32 s10, s30, s10
	;; [unrolled: 1-line block ×3, first 2 shown]
	s_mov_b32 s28, s3
	s_branch .LBB0_4
.LBB0_2:                                ;   in Loop: Header=BB0_4 Depth=1
	s_or_b32 exec_lo, exec_lo, s30
.LBB0_3:                                ;   in Loop: Header=BB0_4 Depth=1
	s_delay_alu instid0(SALU_CYCLE_1) | instskip(SKIP_3) | instid1(VALU_DEP_1)
	s_or_b32 exec_lo, exec_lo, s29
	global_store_b32 v6, v9, s[8:9] scale_offset
	s_wait_xcnt 0x0
	v_add_nc_u32_e32 v6, s23, v6
	v_cmp_le_i32_e32 vcc_lo, s16, v6
	s_or_b32 s28, vcc_lo, s28
	s_delay_alu instid0(SALU_CYCLE_1)
	s_and_not1_b32 exec_lo, exec_lo, s28
	s_cbranch_execz .LBB0_20
.LBB0_4:                                ; =>This Loop Header: Depth=1
                                        ;     Child Loop BB0_14 Depth 2
                                        ;       Child Loop BB0_18 Depth 3
	v_dual_sub_nc_u32 v0, 0, v6 :: v_dual_ashrrev_i32 v2, 31, v6
	s_and_not1_b32 vcc_lo, exec_lo, s27
	s_mov_b32 s0, -1
                                        ; implicit-def: $vgpr10
                                        ; implicit-def: $vgpr3
                                        ; implicit-def: $vgpr4
                                        ; implicit-def: $vgpr5
                                        ; implicit-def: $vgpr8
                                        ; implicit-def: $vgpr9
                                        ; implicit-def: $vgpr7
	s_delay_alu instid0(VALU_DEP_1)
	v_max_i32_e32 v0, v6, v0
	s_cbranch_vccnz .LBB0_6
; %bb.5:                                ;   in Loop: Header=BB0_4 Depth=1
	s_delay_alu instid0(VALU_DEP_1) | instskip(SKIP_1) | instid1(VALU_DEP_1)
	v_mul_u64_e32 v[4:5], s[2:3], v[0:1]
	s_mov_b32 s0, 0
	v_mul_lo_u32 v3, v5, s19
	s_delay_alu instid0(VALU_DEP_1) | instskip(NEXT) | instid1(VALU_DEP_1)
	v_dual_sub_nc_u32 v4, v0, v3 :: v_dual_add_nc_u32 v3, 1, v5
	v_subrev_nc_u32_e32 v7, s19, v4
	v_cmp_le_u32_e32 vcc_lo, s19, v4
	s_delay_alu instid0(VALU_DEP_3) | instskip(NEXT) | instid1(VALU_DEP_1)
	v_dual_cndmask_b32 v5, v5, v3, vcc_lo :: v_dual_ashrrev_i32 v3, 31, v6
	v_dual_cndmask_b32 v4, v4, v7 :: v_dual_add_nc_u32 v7, 1, v5
	s_delay_alu instid0(VALU_DEP_2) | instskip(NEXT) | instid1(VALU_DEP_2)
	v_xor_b32_e32 v8, s24, v3
	v_cmp_le_u32_e32 vcc_lo, s19, v4
	s_delay_alu instid0(VALU_DEP_3) | instskip(NEXT) | instid1(VALU_DEP_1)
	v_cndmask_b32_e32 v5, v5, v7, vcc_lo
	v_xor_b32_e32 v5, v5, v8
	s_delay_alu instid0(VALU_DEP_1) | instskip(NEXT) | instid1(VALU_DEP_1)
	v_sub_nc_u32_e32 v5, v5, v8
	v_dual_mov_b32 v9, v1 :: v_dual_sub_nc_u32 v7, 0, v5
	s_delay_alu instid0(VALU_DEP_1) | instskip(NEXT) | instid1(VALU_DEP_1)
	v_max_i32_e32 v8, v5, v7
	v_mul_u64_e32 v[10:11], s[10:11], v[8:9]
	s_delay_alu instid0(VALU_DEP_1) | instskip(NEXT) | instid1(VALU_DEP_1)
	v_mul_lo_u32 v7, v11, s20
	v_sub_nc_u32_e32 v7, v8, v7
	v_add_nc_u32_e32 v8, 1, v11
	s_delay_alu instid0(VALU_DEP_2) | instskip(SKIP_1) | instid1(VALU_DEP_3)
	v_subrev_nc_u32_e32 v9, s20, v7
	v_cmp_le_u32_e32 vcc_lo, s20, v7
	v_cndmask_b32_e32 v10, v11, v8, vcc_lo
	s_delay_alu instid0(VALU_DEP_3) | instskip(SKIP_1) | instid1(VALU_DEP_3)
	v_cndmask_b32_e32 v8, v7, v9, vcc_lo
	v_dual_ashrrev_i32 v5, 31, v5 :: v_dual_mov_b32 v11, v1
	v_add_nc_u32_e32 v7, 1, v10
	s_delay_alu instid0(VALU_DEP_3) | instskip(NEXT) | instid1(VALU_DEP_2)
	v_cmp_le_u32_e32 vcc_lo, s20, v8
	v_dual_cndmask_b32 v7, v10, v7, vcc_lo :: v_dual_bitop2_b32 v9, s25, v5 bitop3:0x14
	s_delay_alu instid0(VALU_DEP_1) | instskip(NEXT) | instid1(VALU_DEP_1)
	v_xor_b32_e32 v7, v7, v9
	v_sub_nc_u32_e32 v7, v7, v9
	s_delay_alu instid0(VALU_DEP_1) | instskip(NEXT) | instid1(VALU_DEP_1)
	v_sub_nc_u32_e32 v9, 0, v7
	v_max_i32_e32 v10, v7, v9
	s_delay_alu instid0(VALU_DEP_1) | instskip(NEXT) | instid1(VALU_DEP_1)
	v_mul_u64_e32 v[12:13], s[14:15], v[10:11]
	v_mul_lo_u32 v9, v13, s21
	s_delay_alu instid0(VALU_DEP_1) | instskip(NEXT) | instid1(VALU_DEP_1)
	v_sub_nc_u32_e32 v10, v10, v9
	v_subrev_nc_u32_e32 v11, s21, v10
	v_cmp_le_u32_e32 vcc_lo, s21, v10
	v_add_nc_u32_e32 v9, 1, v13
	s_delay_alu instid0(VALU_DEP_1) | instskip(NEXT) | instid1(VALU_DEP_1)
	v_dual_cndmask_b32 v12, v13, v9 :: v_dual_ashrrev_i32 v9, 31, v7
	v_dual_cndmask_b32 v7, v10, v11 :: v_dual_add_nc_u32 v10, 1, v12
	s_delay_alu instid0(VALU_DEP_1) | instskip(NEXT) | instid1(VALU_DEP_2)
	v_cmp_le_u32_e32 vcc_lo, s21, v7
	v_dual_cndmask_b32 v10, v12, v10, vcc_lo :: v_dual_bitop2_b32 v11, s26, v9 bitop3:0x14
	s_delay_alu instid0(VALU_DEP_1) | instskip(NEXT) | instid1(VALU_DEP_1)
	v_xor_b32_e32 v10, v10, v11
	v_sub_nc_u32_e32 v10, v10, v11
.LBB0_6:                                ;   in Loop: Header=BB0_4 Depth=1
	s_and_not1_b32 vcc_lo, exec_lo, s0
	s_cbranch_vccnz .LBB0_8
; %bb.7:                                ;   in Loop: Header=BB0_4 Depth=1
	s_delay_alu instid0(VALU_DEP_1) | instskip(NEXT) | instid1(VALU_DEP_1)
	v_mul_u64_e32 v[4:5], s[14:15], v[0:1]
	v_mul_lo_u32 v3, v5, s21
	s_delay_alu instid0(VALU_DEP_1) | instskip(NEXT) | instid1(VALU_DEP_1)
	v_dual_sub_nc_u32 v0, v0, v3 :: v_dual_add_nc_u32 v3, 1, v5
	v_subrev_nc_u32_e32 v4, s21, v0
	v_cmp_le_u32_e32 vcc_lo, s21, v0
	s_delay_alu instid0(VALU_DEP_2) | instskip(NEXT) | instid1(VALU_DEP_1)
	v_dual_cndmask_b32 v3, v5, v3, vcc_lo :: v_dual_cndmask_b32 v7, v0, v4, vcc_lo
	v_dual_add_nc_u32 v0, 1, v3 :: v_dual_bitop2_b32 v4, s26, v2 bitop3:0x14
	s_delay_alu instid0(VALU_DEP_2) | instskip(NEXT) | instid1(VALU_DEP_2)
	v_cmp_le_u32_e32 vcc_lo, s21, v7
	v_cndmask_b32_e32 v0, v3, v0, vcc_lo
	s_delay_alu instid0(VALU_DEP_1) | instskip(NEXT) | instid1(VALU_DEP_1)
	v_xor_b32_e32 v0, v0, v4
	v_sub_nc_u32_e32 v3, v0, v4
	s_delay_alu instid0(VALU_DEP_1) | instskip(NEXT) | instid1(VALU_DEP_1)
	v_sub_nc_u32_e32 v0, 0, v3
	v_max_i32_e32 v0, v3, v0
	s_delay_alu instid0(VALU_DEP_1) | instskip(NEXT) | instid1(VALU_DEP_1)
	v_mul_u64_e32 v[4:5], s[2:3], v[0:1]
	v_mul_lo_u32 v4, v5, s19
	s_delay_alu instid0(VALU_DEP_1) | instskip(SKIP_1) | instid1(VALU_DEP_2)
	v_dual_sub_nc_u32 v0, v0, v4 :: v_dual_add_nc_u32 v4, 1, v5
	v_ashrrev_i32_e32 v3, 31, v3
	v_subrev_nc_u32_e32 v8, s19, v0
	v_cmp_le_u32_e32 vcc_lo, s19, v0
	s_delay_alu instid0(VALU_DEP_4) | instskip(NEXT) | instid1(VALU_DEP_1)
	v_cndmask_b32_e32 v5, v5, v4, vcc_lo
	v_dual_cndmask_b32 v4, v0, v8, vcc_lo :: v_dual_add_nc_u32 v0, 1, v5
	s_delay_alu instid0(VALU_DEP_1) | instskip(NEXT) | instid1(VALU_DEP_2)
	v_cmp_le_u32_e32 vcc_lo, s19, v4
	v_dual_cndmask_b32 v0, v5, v0, vcc_lo :: v_dual_bitop2_b32 v8, s24, v3 bitop3:0x14
	s_delay_alu instid0(VALU_DEP_1) | instskip(NEXT) | instid1(VALU_DEP_1)
	v_xor_b32_e32 v0, v0, v8
	v_sub_nc_u32_e32 v5, v0, v8
	s_delay_alu instid0(VALU_DEP_1) | instskip(NEXT) | instid1(VALU_DEP_1)
	v_sub_nc_u32_e32 v0, 0, v5
	v_max_i32_e32 v0, v5, v0
	s_delay_alu instid0(VALU_DEP_1) | instskip(NEXT) | instid1(VALU_DEP_1)
	v_mul_u64_e32 v[8:9], s[10:11], v[0:1]
	v_mul_lo_u32 v8, v9, s20
	s_delay_alu instid0(VALU_DEP_1) | instskip(SKIP_1) | instid1(VALU_DEP_2)
	v_dual_sub_nc_u32 v0, v0, v8 :: v_dual_add_nc_u32 v8, 1, v9
	v_ashrrev_i32_e32 v5, 31, v5
	v_subrev_nc_u32_e32 v10, s20, v0
	v_cmp_le_u32_e32 vcc_lo, s20, v0
	s_delay_alu instid0(VALU_DEP_2) | instskip(NEXT) | instid1(VALU_DEP_1)
	v_dual_cndmask_b32 v9, v9, v8 :: v_dual_cndmask_b32 v8, v0, v10
	v_add_nc_u32_e32 v0, 1, v9
	s_delay_alu instid0(VALU_DEP_2) | instskip(NEXT) | instid1(VALU_DEP_2)
	v_cmp_le_u32_e32 vcc_lo, s20, v8
	v_dual_cndmask_b32 v0, v9, v0, vcc_lo :: v_dual_bitop2_b32 v10, s25, v5 bitop3:0x14
	s_delay_alu instid0(VALU_DEP_1) | instskip(NEXT) | instid1(VALU_DEP_1)
	v_dual_mov_b32 v9, v2 :: v_dual_bitop2_b32 v0, v0, v10 bitop3:0x14
	v_sub_nc_u32_e32 v10, v0, v10
.LBB0_8:                                ;   in Loop: Header=BB0_4 Depth=1
	v_subrev_nc_u32_e32 v0, s21, v7
	v_cmp_le_u32_e32 vcc_lo, s21, v7
	s_delay_alu instid0(VALU_DEP_3) | instskip(NEXT) | instid1(VALU_DEP_3)
	v_mul_lo_u32 v2, s22, v10
	v_cndmask_b32_e32 v0, v7, v0, vcc_lo
	s_and_not1_b32 vcc_lo, exec_lo, s27
	s_delay_alu instid0(VALU_DEP_1) | instskip(NEXT) | instid1(VALU_DEP_1)
	v_xor_b32_e32 v0, v0, v9
	v_sub_nc_u32_e32 v0, v0, v9
	s_cbranch_vccnz .LBB0_10
; %bb.9:                                ;   in Loop: Header=BB0_4 Depth=1
	s_delay_alu instid0(VALU_DEP_1)
	v_mad_u32 v2, s1, v0, v2
.LBB0_10:                               ;   in Loop: Header=BB0_4 Depth=1
	v_subrev_nc_u32_e32 v7, s20, v8
	v_cmp_le_u32_e32 vcc_lo, s20, v8
	s_mov_b32 s29, exec_lo
	s_delay_alu instid0(VALU_DEP_2) | instskip(NEXT) | instid1(VALU_DEP_1)
	v_cndmask_b32_e32 v7, v8, v7, vcc_lo
	v_xor_b32_e32 v7, v7, v5
	s_delay_alu instid0(VALU_DEP_1) | instskip(NEXT) | instid1(VALU_DEP_1)
	v_sub_nc_u32_e32 v5, v7, v5
	v_add_nc_u32_e32 v7, 1, v5
	s_delay_alu instid0(VALU_DEP_1) | instskip(SKIP_1) | instid1(VALU_DEP_2)
	v_dual_ashrrev_i32 v8, 31, v7 :: v_dual_add_nc_u32 v9, -10, v5
	v_cmp_lt_i32_e32 vcc_lo, 9, v5
	v_dual_lshrrev_b32 v8, 30, v8 :: v_dual_lshrrev_b32 v9, 2, v9
	s_delay_alu instid0(VALU_DEP_1) | instskip(NEXT) | instid1(VALU_DEP_1)
	v_dual_add_nc_u32 v7, v7, v8 :: v_dual_add_nc_u32 v8, 1, v9
	v_dual_ashrrev_i32 v9, 2, v7 :: v_dual_cndmask_b32 v7, 0, v8, vcc_lo
	s_delay_alu instid0(VALU_DEP_1) | instskip(SKIP_1) | instid1(VALU_DEP_2)
	v_add_min_i32_e64 v8, v9, 1, s7
	v_mov_b32_e32 v9, 0
	v_cmpx_lt_i32_e64 v7, v8
	s_cbranch_execz .LBB0_3
; %bb.11:                               ;   in Loop: Header=BB0_4 Depth=1
	v_subrev_nc_u32_e32 v5, s19, v4
	v_cmp_le_u32_e32 vcc_lo, s19, v4
	v_mul_lo_u32 v10, s17, v7
	s_mov_b32 s30, 0
	s_delay_alu instid0(VALU_DEP_3) | instskip(NEXT) | instid1(VALU_DEP_1)
	v_cndmask_b32_e32 v4, v4, v5, vcc_lo
	v_xor_b32_e32 v4, v4, v3
	s_delay_alu instid0(VALU_DEP_1) | instskip(NEXT) | instid1(VALU_DEP_1)
	v_sub_nc_u32_e32 v4, v4, v3
	v_add_nc_u32_e32 v9, -10, v4
	s_delay_alu instid0(VALU_DEP_1) | instskip(SKIP_1) | instid1(VALU_DEP_2)
	v_dual_lshrrev_b32 v9, 2, v9 :: v_dual_add_nc_u32 v3, 1, v4
	v_cmp_lt_i32_e32 vcc_lo, 9, v4
	v_ashrrev_i32_e32 v5, 31, v3
	s_delay_alu instid0(VALU_DEP_1) | instskip(NEXT) | instid1(VALU_DEP_1)
	v_lshrrev_b32_e32 v5, 30, v5
	v_add_nc_u32_e32 v3, v3, v5
	s_delay_alu instid0(VALU_DEP_1) | instskip(NEXT) | instid1(VALU_DEP_1)
	v_dual_add_nc_u32 v5, 1, v9 :: v_dual_ashrrev_i32 v9, 2, v3
	v_dual_ashrrev_i32 v3, 31, v2 :: v_dual_cndmask_b32 v11, 0, v5, vcc_lo
	s_delay_alu instid0(VALU_DEP_2) | instskip(NEXT) | instid1(VALU_DEP_2)
	v_add_min_i32_e64 v12, v9, 1, s17
	v_lshl_add_u64 v[2:3], v[2:3], 2, s[12:13]
	s_delay_alu instid0(VALU_DEP_3) | instskip(NEXT) | instid1(VALU_DEP_3)
	v_dual_mov_b32 v9, 0 :: v_dual_lshlrev_b32 v13, 2, v11
	v_cmp_lt_i32_e64 s0, v11, v12
	s_branch .LBB0_14
.LBB0_12:                               ;   in Loop: Header=BB0_14 Depth=2
	s_or_b32 exec_lo, exec_lo, s33
.LBB0_13:                               ;   in Loop: Header=BB0_14 Depth=2
	s_delay_alu instid0(SALU_CYCLE_1) | instskip(SKIP_1) | instid1(VALU_DEP_1)
	s_or_b32 exec_lo, exec_lo, s31
	v_dual_add_nc_u32 v7, 1, v7 :: v_dual_add_nc_u32 v10, s17, v10
	v_cmp_ge_i32_e32 vcc_lo, v7, v8
	s_or_b32 s30, vcc_lo, s30
	s_delay_alu instid0(SALU_CYCLE_1)
	s_and_not1_b32 exec_lo, exec_lo, s30
	s_cbranch_execz .LBB0_2
.LBB0_14:                               ;   Parent Loop BB0_4 Depth=1
                                        ; =>  This Loop Header: Depth=2
                                        ;       Child Loop BB0_18 Depth 3
	s_delay_alu instid0(VALU_DEP_1)
	s_and_saveexec_b32 s31, s0
	s_cbranch_execz .LBB0_13
; %bb.15:                               ;   in Loop: Header=BB0_14 Depth=2
	v_dual_mov_b32 v15, v13 :: v_dual_lshlrev_b32 v4, 2, v7
	v_mul_lo_u32 v14, v7, s17
	s_mov_b32 s33, 0
	v_mov_b32_e32 v17, v11
	s_delay_alu instid0(VALU_DEP_3) | instskip(SKIP_1) | instid1(VALU_DEP_1)
	v_add_min_i32_e64 v5, v4, 10, s5
	v_max_i32_e32 v4, 1, v4
	v_sub_nc_u32_e32 v4, v5, v4
	s_delay_alu instid0(VALU_DEP_1)
	v_add_nc_u32_e32 v16, 1, v4
	s_branch .LBB0_18
.LBB0_16:                               ;   in Loop: Header=BB0_18 Depth=3
	v_add_nc_u32_e32 v4, v17, v14
	s_delay_alu instid0(VALU_DEP_1)
	v_mad_u32 v4, v4, s4, v0
.LBB0_17:                               ;   in Loop: Header=BB0_18 Depth=3
	s_delay_alu instid0(VALU_DEP_1) | instskip(SKIP_1) | instid1(VALU_DEP_2)
	v_dual_ashrrev_i32 v5, 31, v4 :: v_dual_max_i32 v18, 1, v15
	v_add_nc_u32_e32 v17, 1, v17
	v_lshl_add_u64 v[4:5], v[4:5], 2, v[2:3]
	global_load_b32 v4, v[4:5], off
	s_wait_xcnt 0x0
	v_add_min_i32_e64 v5, v15, 10, s6
	s_delay_alu instid0(VALU_DEP_1) | instskip(NEXT) | instid1(VALU_DEP_1)
	v_dual_add_nc_u32 v15, 4, v15 :: v_dual_sub_nc_u32 v5, v5, v18
	v_mad_u32 v5, v16, v5, v16
	s_delay_alu instid0(VALU_DEP_1) | instskip(NEXT) | instid1(VALU_DEP_1)
	v_cvt_f32_i32_e32 v5, v5
	v_div_scale_f32 v18, null, v5, v5, 1.0
	v_div_scale_f32 v21, vcc_lo, 1.0, v5, 1.0
	s_delay_alu instid0(VALU_DEP_2) | instskip(SKIP_1) | instid1(TRANS32_DEP_1)
	v_rcp_f32_e32 v19, v18
	v_nop
	v_fma_f32 v20, -v18, v19, 1.0
	s_delay_alu instid0(VALU_DEP_1) | instskip(NEXT) | instid1(VALU_DEP_1)
	v_fmac_f32_e32 v19, v20, v19
	v_mul_f32_e32 v20, v21, v19
	s_delay_alu instid0(VALU_DEP_1) | instskip(NEXT) | instid1(VALU_DEP_1)
	v_fma_f32 v22, -v18, v20, v21
	v_fmac_f32_e32 v20, v22, v19
	s_delay_alu instid0(VALU_DEP_1) | instskip(NEXT) | instid1(VALU_DEP_1)
	v_fma_f32 v18, -v18, v20, v21
	v_div_fmas_f32 v18, v18, v19, v20
	v_cmp_ge_i32_e32 vcc_lo, v17, v12
	s_delay_alu instid0(VALU_DEP_2) | instskip(SKIP_2) | instid1(VALU_DEP_1)
	v_div_fixup_f32 v5, v18, v5, 1.0
	s_or_b32 s33, vcc_lo, s33
	s_wait_loadcnt 0x0
	v_fmac_f32_e32 v9, v5, v4
	s_and_not1_b32 exec_lo, exec_lo, s33
	s_cbranch_execz .LBB0_12
.LBB0_18:                               ;   Parent Loop BB0_4 Depth=1
                                        ;     Parent Loop BB0_14 Depth=2
                                        ; =>    This Inner Loop Header: Depth=3
	s_and_not1_b32 vcc_lo, exec_lo, s18
	s_cbranch_vccz .LBB0_16
; %bb.19:                               ;   in Loop: Header=BB0_18 Depth=3
	v_add_nc_u32_e32 v4, v10, v17
	s_branch .LBB0_17
.LBB0_20:
	s_endpgm
	.section	.rodata,"a",@progbits
	.p2align	6, 0x0
	.amdhsa_kernel _Z16KernelPool2DGradI11AvgPoolGradIfEfLi11ELi11ELi4ELi4ELi1ELi1ELb1EEviPKT0_S4_S4_iiiiiT_PS2_b
		.amdhsa_group_segment_fixed_size 0
		.amdhsa_private_segment_fixed_size 0
		.amdhsa_kernarg_size 328
		.amdhsa_user_sgpr_count 2
		.amdhsa_user_sgpr_dispatch_ptr 0
		.amdhsa_user_sgpr_queue_ptr 0
		.amdhsa_user_sgpr_kernarg_segment_ptr 1
		.amdhsa_user_sgpr_dispatch_id 0
		.amdhsa_user_sgpr_kernarg_preload_length 0
		.amdhsa_user_sgpr_kernarg_preload_offset 0
		.amdhsa_user_sgpr_private_segment_size 0
		.amdhsa_wavefront_size32 1
		.amdhsa_uses_dynamic_stack 0
		.amdhsa_enable_private_segment 0
		.amdhsa_system_sgpr_workgroup_id_x 1
		.amdhsa_system_sgpr_workgroup_id_y 0
		.amdhsa_system_sgpr_workgroup_id_z 0
		.amdhsa_system_sgpr_workgroup_info 0
		.amdhsa_system_vgpr_workitem_id 0
		.amdhsa_next_free_vgpr 23
		.amdhsa_next_free_sgpr 34
		.amdhsa_named_barrier_count 0
		.amdhsa_reserve_vcc 1
		.amdhsa_float_round_mode_32 0
		.amdhsa_float_round_mode_16_64 0
		.amdhsa_float_denorm_mode_32 3
		.amdhsa_float_denorm_mode_16_64 3
		.amdhsa_fp16_overflow 0
		.amdhsa_memory_ordered 1
		.amdhsa_forward_progress 1
		.amdhsa_inst_pref_size 14
		.amdhsa_round_robin_scheduling 0
		.amdhsa_exception_fp_ieee_invalid_op 0
		.amdhsa_exception_fp_denorm_src 0
		.amdhsa_exception_fp_ieee_div_zero 0
		.amdhsa_exception_fp_ieee_overflow 0
		.amdhsa_exception_fp_ieee_underflow 0
		.amdhsa_exception_fp_ieee_inexact 0
		.amdhsa_exception_int_div_zero 0
	.end_amdhsa_kernel
	.section	.text._Z16KernelPool2DGradI11AvgPoolGradIfEfLi11ELi11ELi4ELi4ELi1ELi1ELb1EEviPKT0_S4_S4_iiiiiT_PS2_b,"axG",@progbits,_Z16KernelPool2DGradI11AvgPoolGradIfEfLi11ELi11ELi4ELi4ELi1ELi1ELb1EEviPKT0_S4_S4_iiiiiT_PS2_b,comdat
.Lfunc_end0:
	.size	_Z16KernelPool2DGradI11AvgPoolGradIfEfLi11ELi11ELi4ELi4ELi1ELi1ELb1EEviPKT0_S4_S4_iiiiiT_PS2_b, .Lfunc_end0-_Z16KernelPool2DGradI11AvgPoolGradIfEfLi11ELi11ELi4ELi4ELi1ELi1ELb1EEviPKT0_S4_S4_iiiiiT_PS2_b
                                        ; -- End function
	.set _Z16KernelPool2DGradI11AvgPoolGradIfEfLi11ELi11ELi4ELi4ELi1ELi1ELb1EEviPKT0_S4_S4_iiiiiT_PS2_b.num_vgpr, 23
	.set _Z16KernelPool2DGradI11AvgPoolGradIfEfLi11ELi11ELi4ELi4ELi1ELi1ELb1EEviPKT0_S4_S4_iiiiiT_PS2_b.num_agpr, 0
	.set _Z16KernelPool2DGradI11AvgPoolGradIfEfLi11ELi11ELi4ELi4ELi1ELi1ELb1EEviPKT0_S4_S4_iiiiiT_PS2_b.numbered_sgpr, 34
	.set _Z16KernelPool2DGradI11AvgPoolGradIfEfLi11ELi11ELi4ELi4ELi1ELi1ELb1EEviPKT0_S4_S4_iiiiiT_PS2_b.num_named_barrier, 0
	.set _Z16KernelPool2DGradI11AvgPoolGradIfEfLi11ELi11ELi4ELi4ELi1ELi1ELb1EEviPKT0_S4_S4_iiiiiT_PS2_b.private_seg_size, 0
	.set _Z16KernelPool2DGradI11AvgPoolGradIfEfLi11ELi11ELi4ELi4ELi1ELi1ELb1EEviPKT0_S4_S4_iiiiiT_PS2_b.uses_vcc, 1
	.set _Z16KernelPool2DGradI11AvgPoolGradIfEfLi11ELi11ELi4ELi4ELi1ELi1ELb1EEviPKT0_S4_S4_iiiiiT_PS2_b.uses_flat_scratch, 0
	.set _Z16KernelPool2DGradI11AvgPoolGradIfEfLi11ELi11ELi4ELi4ELi1ELi1ELb1EEviPKT0_S4_S4_iiiiiT_PS2_b.has_dyn_sized_stack, 0
	.set _Z16KernelPool2DGradI11AvgPoolGradIfEfLi11ELi11ELi4ELi4ELi1ELi1ELb1EEviPKT0_S4_S4_iiiiiT_PS2_b.has_recursion, 0
	.set _Z16KernelPool2DGradI11AvgPoolGradIfEfLi11ELi11ELi4ELi4ELi1ELi1ELb1EEviPKT0_S4_S4_iiiiiT_PS2_b.has_indirect_call, 0
	.section	.AMDGPU.csdata,"",@progbits
; Kernel info:
; codeLenInByte = 1760
; TotalNumSgprs: 36
; NumVgprs: 23
; ScratchSize: 0
; MemoryBound: 0
; FloatMode: 240
; IeeeMode: 1
; LDSByteSize: 0 bytes/workgroup (compile time only)
; SGPRBlocks: 0
; VGPRBlocks: 1
; NumSGPRsForWavesPerEU: 36
; NumVGPRsForWavesPerEU: 23
; NamedBarCnt: 0
; Occupancy: 16
; WaveLimiterHint : 0
; COMPUTE_PGM_RSRC2:SCRATCH_EN: 0
; COMPUTE_PGM_RSRC2:USER_SGPR: 2
; COMPUTE_PGM_RSRC2:TRAP_HANDLER: 0
; COMPUTE_PGM_RSRC2:TGID_X_EN: 1
; COMPUTE_PGM_RSRC2:TGID_Y_EN: 0
; COMPUTE_PGM_RSRC2:TGID_Z_EN: 0
; COMPUTE_PGM_RSRC2:TIDIG_COMP_CNT: 0
	.section	.AMDGPU.gpr_maximums,"",@progbits
	.set amdgpu.max_num_vgpr, 0
	.set amdgpu.max_num_agpr, 0
	.set amdgpu.max_num_sgpr, 0
	.section	.AMDGPU.csdata,"",@progbits
	.type	__hip_cuid_ed183e2cf468b229,@object ; @__hip_cuid_ed183e2cf468b229
	.section	.bss,"aw",@nobits
	.globl	__hip_cuid_ed183e2cf468b229
__hip_cuid_ed183e2cf468b229:
	.byte	0                               ; 0x0
	.size	__hip_cuid_ed183e2cf468b229, 1

	.ident	"AMD clang version 22.0.0git (https://github.com/RadeonOpenCompute/llvm-project roc-7.2.4 26084 f58b06dce1f9c15707c5f808fd002e18c2accf7e)"
	.section	".note.GNU-stack","",@progbits
	.addrsig
	.addrsig_sym __hip_cuid_ed183e2cf468b229
	.amdgpu_metadata
---
amdhsa.kernels:
  - .args:
      - .offset:         0
        .size:           4
        .value_kind:     by_value
      - .actual_access:  read_only
        .address_space:  global
        .offset:         8
        .size:           8
        .value_kind:     global_buffer
      - .actual_access:  read_only
        .address_space:  global
        .offset:         16
        .size:           8
        .value_kind:     global_buffer
      - .actual_access:  read_only
        .address_space:  global
        .offset:         24
        .size:           8
        .value_kind:     global_buffer
      - .offset:         32
        .size:           4
        .value_kind:     by_value
      - .offset:         36
        .size:           4
        .value_kind:     by_value
      - .offset:         40
        .size:           4
        .value_kind:     by_value
      - .offset:         44
        .size:           4
        .value_kind:     by_value
      - .offset:         48
        .size:           4
        .value_kind:     by_value
      - .offset:         52
        .size:           1
        .value_kind:     by_value
      - .actual_access:  write_only
        .address_space:  global
        .offset:         56
        .size:           8
        .value_kind:     global_buffer
      - .offset:         64
        .size:           1
        .value_kind:     by_value
      - .offset:         72
        .size:           4
        .value_kind:     hidden_block_count_x
      - .offset:         76
        .size:           4
        .value_kind:     hidden_block_count_y
      - .offset:         80
        .size:           4
        .value_kind:     hidden_block_count_z
      - .offset:         84
        .size:           2
        .value_kind:     hidden_group_size_x
      - .offset:         86
        .size:           2
        .value_kind:     hidden_group_size_y
      - .offset:         88
        .size:           2
        .value_kind:     hidden_group_size_z
      - .offset:         90
        .size:           2
        .value_kind:     hidden_remainder_x
      - .offset:         92
        .size:           2
        .value_kind:     hidden_remainder_y
      - .offset:         94
        .size:           2
        .value_kind:     hidden_remainder_z
      - .offset:         112
        .size:           8
        .value_kind:     hidden_global_offset_x
      - .offset:         120
        .size:           8
        .value_kind:     hidden_global_offset_y
      - .offset:         128
        .size:           8
        .value_kind:     hidden_global_offset_z
      - .offset:         136
        .size:           2
        .value_kind:     hidden_grid_dims
    .group_segment_fixed_size: 0
    .kernarg_segment_align: 8
    .kernarg_segment_size: 328
    .language:       OpenCL C
    .language_version:
      - 2
      - 0
    .max_flat_workgroup_size: 1024
    .name:           _Z16KernelPool2DGradI11AvgPoolGradIfEfLi11ELi11ELi4ELi4ELi1ELi1ELb1EEviPKT0_S4_S4_iiiiiT_PS2_b
    .private_segment_fixed_size: 0
    .sgpr_count:     36
    .sgpr_spill_count: 0
    .symbol:         _Z16KernelPool2DGradI11AvgPoolGradIfEfLi11ELi11ELi4ELi4ELi1ELi1ELb1EEviPKT0_S4_S4_iiiiiT_PS2_b.kd
    .uniform_work_group_size: 1
    .uses_dynamic_stack: false
    .vgpr_count:     23
    .vgpr_spill_count: 0
    .wavefront_size: 32
amdhsa.target:   amdgcn-amd-amdhsa--gfx1250
amdhsa.version:
  - 1
  - 2
...

	.end_amdgpu_metadata
